;; amdgpu-corpus repo=FlagOpen/FlagGems kind=triton arch=gfx950 opt=O3 lang=triton
	.amdgcn_target "amdgcn-amd-amdhsa--gfx950"
	.amdhsa_code_object_version 5
	.text
	.globl	skip_layer_norm_kernel          ; -- Begin function skip_layer_norm_kernel
	.p2align	8
	.type	skip_layer_norm_kernel,@function
skip_layer_norm_kernel:                 ; @skip_layer_norm_kernel
.Lfunc_begin0:
	.cfi_sections .debug_frame
	.cfi_startproc
; %bb.37:
	.file	1 "/root/src/amdgpu-assembly/repos/FlagOpen__FlagGems/triton_aot_kernels" "skip_layernorm_aot.py"
	.loc	1 8 0 prologue_end              ; skip_layernorm_aot.py:8:0
	s_load_dwordx2 s[2:3], s[0:1], 0x0
	s_load_dwordx8 s[4:11], s[0:1], 0x8
	s_load_dwordx4 s[12:15], s[0:1], 0x28
	s_waitcnt lgkmcnt(0)
	s_branch .LBB0_0
	.loc	1 0 0 is_stmt 0                 ; :0:0
.Ltmp0:
	.p2align	8
; %bb.38:
.LBB0_0:
	s_mov_b64 s[24:25], s[10:11]
.Ltmp1:
	.loc	1 26 15 is_stmt 1               ; skip_layernorm_aot.py:26:15
	s_mul_i32 s10, s14, s16
	s_load_dword s17, s[0:1], 0x40
	.loc	1 26 9 is_stmt 0                ; skip_layernorm_aot.py:26:9
	s_ashr_i32 s11, s10, 31
	s_lshl_b64 s[10:11], s[10:11], 1
.Ltmp2:
	.file	2 "/root/.local/lib/python3.13/site-packages/triton/language" "standard.py"
	.loc	2 293 36 is_stmt 1              ; standard.py:293:36 @[ skip_layernorm_aot.py:41:17 ]
	v_readfirstlane_b32 s28, v0
.Ltmp3:
	.loc	1 26 9                          ; skip_layernorm_aot.py:26:9
	s_add_u32 s10, s4, s10
	s_addc_u32 s11, s5, s11
	.loc	1 29 24                         ; skip_layernorm_aot.py:29:24
	v_and_b32_e32 v1, 63, v0
	s_and_b32 s4, s28, 0x1c0
	v_or_b32_e32 v8, s4, v1
	.loc	1 31 39                         ; skip_layernorm_aot.py:31:39
	v_mov_b32_e32 v3, 0
	.loc	1 29 38                         ; skip_layernorm_aot.py:29:38
	s_waitcnt lgkmcnt(0)
	v_cmp_gt_i32_e64 s[4:5], s17, v8
	v_mov_b32_e32 v2, v3
	.loc	1 31 39                         ; skip_layernorm_aot.py:31:39
	s_and_saveexec_b64 s[18:19], s[4:5]
	s_cbranch_execz .LBB0_2
; %bb.1:
	.loc	1 0 39 is_stmt 0                ; skip_layernorm_aot.py:0:39
	v_mul_lo_u32 v4, v8, s15
	v_ashrrev_i32_e32 v5, 31, v4
	v_lshl_add_u64 v[4:5], v[4:5], 1, s[10:11]
	.loc	1 31 39                         ; skip_layernorm_aot.py:31:39
	global_load_ushort v2, v[4:5], off
.LBB0_2:
	.loc	1 0 39                          ; skip_layernorm_aot.py:0:39
	s_or_b64 exec, exec, s[18:19]
	.loc	1 29 24 is_stmt 1               ; skip_layernorm_aot.py:29:24
	v_or_b32_e32 v9, 0x200, v8
	.loc	1 29 38 is_stmt 0               ; skip_layernorm_aot.py:29:38
	v_cmp_gt_i32_e64 s[20:21], s17, v9
	.loc	1 31 39 is_stmt 1               ; skip_layernorm_aot.py:31:39
	s_and_saveexec_b64 s[18:19], s[20:21]
	s_cbranch_execz .LBB0_4
; %bb.3:
	.loc	1 31 27 is_stmt 0               ; skip_layernorm_aot.py:31:27
	v_mul_lo_u32 v4, v9, s15
	.loc	1 31 20                         ; skip_layernorm_aot.py:31:20
	v_ashrrev_i32_e32 v5, 31, v4
	v_lshl_add_u64 v[4:5], v[4:5], 1, s[10:11]
	.loc	1 31 39                         ; skip_layernorm_aot.py:31:39
	global_load_ushort v3, v[4:5], off
.LBB0_4:
	.loc	1 0 39                          ; skip_layernorm_aot.py:0:39
	s_or_b64 exec, exec, s[18:19]
	.loc	1 29 24 is_stmt 1               ; skip_layernorm_aot.py:29:24
	v_or_b32_e32 v6, 0x400, v8
	.loc	1 31 39                         ; skip_layernorm_aot.py:31:39
	v_mov_b32_e32 v5, 0
	.loc	1 29 38                         ; skip_layernorm_aot.py:29:38
	v_cmp_gt_i32_e64 s[22:23], s17, v6
	v_mov_b32_e32 v4, v5
	.loc	1 31 39                         ; skip_layernorm_aot.py:31:39
	s_and_saveexec_b64 s[18:19], s[22:23]
	s_cbranch_execz .LBB0_6
; %bb.5:
	.loc	1 31 27 is_stmt 0               ; skip_layernorm_aot.py:31:27
	v_mul_lo_u32 v10, v6, s15
	.loc	1 31 20                         ; skip_layernorm_aot.py:31:20
	v_ashrrev_i32_e32 v11, 31, v10
	v_lshl_add_u64 v[10:11], v[10:11], 1, s[10:11]
	.loc	1 31 39                         ; skip_layernorm_aot.py:31:39
	global_load_ushort v4, v[10:11], off
.LBB0_6:
	.loc	1 0 39                          ; skip_layernorm_aot.py:0:39
	s_or_b64 exec, exec, s[18:19]
	s_load_dword s29, s[0:1], 0x38
	.loc	1 29 24 is_stmt 1               ; skip_layernorm_aot.py:29:24
	v_or_b32_e32 v7, 0x600, v8
	.loc	1 29 38 is_stmt 0               ; skip_layernorm_aot.py:29:38
	v_cmp_gt_i32_e64 s[18:19], s17, v7
	.loc	1 31 39 is_stmt 1               ; skip_layernorm_aot.py:31:39
	s_and_saveexec_b64 s[26:27], s[18:19]
	s_cbranch_execz .LBB0_8
; %bb.7:
	.loc	1 31 27 is_stmt 0               ; skip_layernorm_aot.py:31:27
	v_mul_lo_u32 v10, v7, s15
	.loc	1 31 20                         ; skip_layernorm_aot.py:31:20
	v_ashrrev_i32_e32 v11, 31, v10
	v_lshl_add_u64 v[10:11], v[10:11], 1, s[10:11]
	.loc	1 31 39                         ; skip_layernorm_aot.py:31:39
	global_load_ushort v5, v[10:11], off
.LBB0_8:
	.loc	1 0 39                          ; skip_layernorm_aot.py:0:39
	s_or_b64 exec, exec, s[26:27]
	s_load_dword s14, s[0:1], 0x3c
	.loc	1 27 15 is_stmt 1               ; skip_layernorm_aot.py:27:15
	s_waitcnt lgkmcnt(0)
	s_mul_i32 s10, s29, s16
	.loc	1 27 9 is_stmt 0                ; skip_layernorm_aot.py:27:9
	s_ashr_i32 s11, s10, 31
	s_lshl_b64 s[10:11], s[10:11], 1
	s_add_u32 s6, s6, s10
	.loc	1 32 39 is_stmt 1               ; skip_layernorm_aot.py:32:39
	v_mov_b32_e32 v11, 0
	.loc	1 27 9                          ; skip_layernorm_aot.py:27:9
	s_addc_u32 s7, s7, s11
	v_mov_b32_e32 v10, v11
	.loc	1 32 39                         ; skip_layernorm_aot.py:32:39
	s_and_saveexec_b64 s[10:11], s[4:5]
	s_cbranch_execz .LBB0_10
; %bb.9:
	.loc	1 0 39 is_stmt 0                ; skip_layernorm_aot.py:0:39
	v_mul_lo_u32 v12, v8, s14
	v_ashrrev_i32_e32 v13, 31, v12
	v_lshl_add_u64 v[12:13], v[12:13], 1, s[6:7]
	.loc	1 32 39                         ; skip_layernorm_aot.py:32:39
	global_load_ushort v10, v[12:13], off
.LBB0_10:
	.loc	1 0 39                          ; skip_layernorm_aot.py:0:39
	s_or_b64 exec, exec, s[10:11]
	.loc	1 32 39                         ; skip_layernorm_aot.py:32:39
	s_and_saveexec_b64 s[10:11], s[20:21]
	s_cbranch_execz .LBB0_12
; %bb.11:
	.loc	1 32 27                         ; skip_layernorm_aot.py:32:27
	v_mul_lo_u32 v12, v9, s14
	.loc	1 32 20                         ; skip_layernorm_aot.py:32:20
	v_ashrrev_i32_e32 v13, 31, v12
	v_lshl_add_u64 v[12:13], v[12:13], 1, s[6:7]
	.loc	1 32 39                         ; skip_layernorm_aot.py:32:39
	global_load_ushort v11, v[12:13], off
.LBB0_12:
	.loc	1 0 39                          ; skip_layernorm_aot.py:0:39
	s_or_b64 exec, exec, s[10:11]
	.loc	1 32 39                         ; skip_layernorm_aot.py:32:39
	v_mov_b32_e32 v13, 0
	v_mov_b32_e32 v12, v13
	s_and_saveexec_b64 s[10:11], s[22:23]
	s_cbranch_execz .LBB0_14
; %bb.13:
	.loc	1 32 27                         ; skip_layernorm_aot.py:32:27
	v_mul_lo_u32 v14, v6, s14
	.loc	1 32 20                         ; skip_layernorm_aot.py:32:20
	v_ashrrev_i32_e32 v15, 31, v14
	v_lshl_add_u64 v[14:15], v[14:15], 1, s[6:7]
	.loc	1 32 39                         ; skip_layernorm_aot.py:32:39
	global_load_ushort v12, v[14:15], off
.LBB0_14:
	.loc	1 0 39                          ; skip_layernorm_aot.py:0:39
	s_or_b64 exec, exec, s[10:11]
	.loc	1 32 39                         ; skip_layernorm_aot.py:32:39
	s_and_saveexec_b64 s[10:11], s[18:19]
	s_cbranch_execz .LBB0_16
; %bb.15:
	.loc	1 32 27                         ; skip_layernorm_aot.py:32:27
	v_mul_lo_u32 v14, v7, s14
	.loc	1 32 20                         ; skip_layernorm_aot.py:32:20
	v_ashrrev_i32_e32 v15, 31, v14
	v_lshl_add_u64 v[14:15], v[14:15], 1, s[6:7]
	.loc	1 32 39                         ; skip_layernorm_aot.py:32:39
	global_load_ushort v13, v[14:15], off
.LBB0_16:
	.loc	1 0 39                          ; skip_layernorm_aot.py:0:39
	s_or_b64 exec, exec, s[10:11]
	.loc	1 31 59 is_stmt 1               ; skip_layernorm_aot.py:31:59
	s_waitcnt vmcnt(0)
	v_cvt_f32_f16_e32 v3, v3
	v_cvt_f32_f16_e32 v2, v2
	.loc	1 32 59                         ; skip_layernorm_aot.py:32:59
	v_cvt_f32_f16_e32 v11, v11
	v_cvt_f32_f16_e32 v10, v10
	.loc	1 31 59                         ; skip_layernorm_aot.py:31:59
	;; [unrolled: 3-line block ×3, first 2 shown]
	v_cvt_f32_f16_e32 v13, v13
	v_cvt_f32_f16_e32 v12, v12
	.loc	1 34 9                          ; skip_layernorm_aot.py:34:9
	v_pk_add_f32 v[2:3], v[2:3], v[10:11]
.Ltmp4:
	.loc	2 293 36                        ; standard.py:293:36 @[ skip_layernorm_aot.py:36:18 ]
	s_lshr_b32 s10, s28, 4
.Ltmp5:
	.loc	2 263 15                        ; standard.py:263:15 @[ standard.py:293:36 @[ skip_layernorm_aot.py:36:18 ] ]
	v_add_f32_e32 v10, v2, v3
.Ltmp6:
	.loc	1 34 9                          ; skip_layernorm_aot.py:34:9
	v_pk_add_f32 v[4:5], v[4:5], v[12:13]
.Ltmp7:
	.loc	2 293 36                        ; standard.py:293:36 @[ skip_layernorm_aot.py:36:18 ]
	s_and_b32 s10, s10, 28
.Ltmp8:
	.loc	2 263 15                        ; standard.py:263:15 @[ standard.py:293:36 @[ skip_layernorm_aot.py:36:18 ] ]
	v_add_f32_e32 v10, v10, v4
	v_add_f32_e32 v10, v10, v5
.Ltmp9:
	.loc	2 293 36                        ; standard.py:293:36 @[ skip_layernorm_aot.py:36:18 ]
	v_cmp_eq_u32_e64 s[6:7], 0, v1
	s_add_i32 s28, s10, 0
.Ltmp10:
	.loc	2 263 15                        ; standard.py:263:15 @[ standard.py:293:36 @[ skip_layernorm_aot.py:36:18 ] ]
	v_add_f32_dpp v10, v10, v10 row_shr:8 row_mask:0xf bank_mask:0xf bound_ctrl:1
	s_nop 1
	v_add_f32_dpp v10, v10, v10 row_shr:4 row_mask:0xf bank_mask:0xf bound_ctrl:1
	s_nop 1
	v_add_f32_dpp v10, v10, v10 row_shr:2 row_mask:0xf bank_mask:0xf bound_ctrl:1
	s_nop 1
	v_add_f32_dpp v10, v10, v10 row_shr:1 row_mask:0xf bank_mask:0xf bound_ctrl:1
.Ltmp11:
	.loc	2 293 36                        ; standard.py:293:36 @[ skip_layernorm_aot.py:36:18 ]
	v_mov_b32_e32 v11, v10
	s_nop 1
	v_mov_b32_dpp v11, v11 row_bcast:15 row_mask:0xa bank_mask:0xf bound_ctrl:1
.Ltmp12:
	.loc	2 263 15                        ; standard.py:263:15 @[ standard.py:293:36 @[ skip_layernorm_aot.py:36:18 ] ]
	v_add_f32_e32 v10, v11, v10
	s_nop 1
	v_add_f32_dpp v10, v10, v10 row_bcast:31 row_mask:0xf bank_mask:0xf bound_ctrl:1
.Ltmp13:
	.loc	2 293 36                        ; standard.py:293:36 @[ skip_layernorm_aot.py:36:18 ]
	s_nop 0
	v_readlane_b32 s14, v10, 63
	s_and_saveexec_b64 s[10:11], s[6:7]
; %bb.17:
	v_mov_b32_e32 v1, s28
	v_mov_b32_e32 v10, s14
	ds_write_b32 v1, v10
; %bb.18:
	.loc	2 0 36 is_stmt 0                ; standard.py:0:36
	s_or_b64 exec, exec, s[10:11]
	.loc	2 293 36                        ; standard.py:293:36 @[ skip_layernorm_aot.py:36:18 ]
	v_cmp_gt_u32_e64 s[10:11], 8, v0
	v_lshl_add_u32 v11, v0, 2, 0
.Ltmp14:
	.loc	1 36 18 is_stmt 1               ; skip_layernorm_aot.py:36:18
	v_mov_b32_e32 v1, 0
.Ltmp15:
	.loc	2 293 36                        ; standard.py:293:36 @[ skip_layernorm_aot.py:36:18 ]
	s_waitcnt lgkmcnt(0)
	s_barrier
	s_and_saveexec_b64 s[14:15], s[10:11]
; %bb.19:
	ds_read_b32 v1, v11
; %bb.20:
	.loc	2 0 36 is_stmt 0                ; standard.py:0:36
	s_or_b64 exec, exec, s[14:15]
	.loc	2 293 36                        ; standard.py:293:36 @[ skip_layernorm_aot.py:36:18 ]
	s_waitcnt lgkmcnt(0)
	v_mov_b32_e32 v10, v1
	v_and_b32_e32 v0, 7, v0
	v_cmp_eq_u32_e32 vcc, 0, v0
	v_mov_b32_dpp v10, v10 row_shr:4 row_mask:0xf bank_mask:0xa
	s_and_b64 s[14:15], s[10:11], vcc
	s_nop 0
	v_mov_b32_dpp v10, v1 row_shl:4 row_mask:0xf bank_mask:0x5
.Ltmp16:
	.loc	2 263 15 is_stmt 1              ; standard.py:263:15 @[ standard.py:293:36 @[ skip_layernorm_aot.py:36:18 ] ]
	v_add_f32_e32 v1, v1, v10
.Ltmp17:
	.loc	2 293 36                        ; standard.py:293:36 @[ skip_layernorm_aot.py:36:18 ]
	v_mov_b32_e32 v10, v1
	s_nop 1
	v_mov_b32_dpp v10, v10 quad_perm:[2,3,0,1] row_mask:0xf bank_mask:0xf
.Ltmp18:
	.loc	2 263 15                        ; standard.py:263:15 @[ standard.py:293:36 @[ skip_layernorm_aot.py:36:18 ] ]
	v_add_f32_e32 v1, v1, v10
.Ltmp19:
	.loc	2 293 36                        ; standard.py:293:36 @[ skip_layernorm_aot.py:36:18 ]
	v_mov_b32_e32 v10, v1
	s_nop 1
	v_mov_b32_dpp v10, v10 quad_perm:[1,0,3,2] row_mask:0xf bank_mask:0xf
	s_and_saveexec_b64 s[26:27], s[14:15]
; %bb.21:
	.loc	2 0 36 is_stmt 0                ; standard.py:0:36
	v_add_f32_e32 v0, v1, v10
	.loc	2 293 36                        ; standard.py:293:36 @[ skip_layernorm_aot.py:36:18 ]
	ds_write_b32 v11, v0
; %bb.22:
	.loc	2 0 36                          ; standard.py:0:36
	s_or_b64 exec, exec, s[26:27]
	.loc	2 293 36                        ; standard.py:293:36 @[ skip_layernorm_aot.py:36:18 ]
	v_mov_b32_e32 v0, 0
	s_waitcnt lgkmcnt(0)
	s_barrier
	ds_read_b32 v0, v0
.Ltmp20:
	.loc	1 36 31 is_stmt 1               ; skip_layernorm_aot.py:36:31
	v_cvt_f32_i32_e32 v10, s17
.Ltmp21:
	.loc	2 293 36                        ; standard.py:293:36 @[ skip_layernorm_aot.py:41:17 ]
	s_waitcnt lgkmcnt(0)
	s_barrier
.Ltmp22:
	.loc	1 36 31                         ; skip_layernorm_aot.py:36:31
	v_div_scale_f32 v1, s[26:27], v10, v10, v0
	v_rcp_f32_e32 v12, v1
	v_div_scale_f32 v13, vcc, v0, v10, v0
	v_fma_f32 v14, -v1, v12, 1.0
	v_fmac_f32_e32 v12, v14, v12
	v_mul_f32_e32 v14, v13, v12
	v_fma_f32 v15, -v1, v14, v13
	v_fmac_f32_e32 v14, v15, v12
	v_fma_f32 v1, -v1, v14, v13
	v_div_fmas_f32 v1, v1, v12, v14
	v_div_fixup_f32 v0, v1, v10, v0
	.loc	1 39 30                         ; skip_layernorm_aot.py:39:30
	v_pk_add_f32 v[2:3], v[2:3], v[0:1] op_sel_hi:[1,0] neg_lo:[0,1] neg_hi:[0,1]
	v_pk_add_f32 v[0:1], v[4:5], v[0:1] op_sel_hi:[1,0] neg_lo:[0,1] neg_hi:[0,1]
	.loc	1 39 36 is_stmt 0               ; skip_layernorm_aot.py:39:36
	v_cndmask_b32_e64 v5, 0, v3, s[20:21]
	v_cndmask_b32_e64 v4, 0, v2, s[4:5]
	.loc	1 40 18 is_stmt 1               ; skip_layernorm_aot.py:40:18
	v_mul_f32_e32 v5, v5, v5
	.loc	1 39 36                         ; skip_layernorm_aot.py:39:36
	v_cndmask_b32_e64 v12, 0, v0, s[22:23]
.Ltmp23:
	.loc	2 263 15                        ; standard.py:263:15 @[ standard.py:293:36 @[ skip_layernorm_aot.py:41:17 ] ]
	v_fmac_f32_e32 v5, v4, v4
.Ltmp24:
	.loc	1 39 36                         ; skip_layernorm_aot.py:39:36
	v_cndmask_b32_e64 v13, 0, v1, s[18:19]
.Ltmp25:
	.loc	2 263 15                        ; standard.py:263:15 @[ standard.py:293:36 @[ skip_layernorm_aot.py:41:17 ] ]
	v_fmac_f32_e32 v5, v12, v12
	v_fmac_f32_e32 v5, v13, v13
	s_nop 1
	v_add_f32_dpp v4, v5, v5 row_shr:8 row_mask:0xf bank_mask:0xf bound_ctrl:1
	s_nop 1
	v_add_f32_dpp v4, v4, v4 row_shr:4 row_mask:0xf bank_mask:0xf bound_ctrl:1
	;; [unrolled: 2-line block ×4, first 2 shown]
.Ltmp26:
	.loc	2 293 36                        ; standard.py:293:36 @[ skip_layernorm_aot.py:41:17 ]
	v_mov_b32_e32 v5, v4
	s_nop 1
	v_mov_b32_dpp v5, v5 row_bcast:15 row_mask:0xa bank_mask:0xf bound_ctrl:1
.Ltmp27:
	.loc	2 263 15                        ; standard.py:263:15 @[ standard.py:293:36 @[ skip_layernorm_aot.py:41:17 ] ]
	v_add_f32_e32 v4, v5, v4
	s_nop 1
	v_add_f32_dpp v4, v4, v4 row_bcast:31 row_mask:0xf bank_mask:0xf bound_ctrl:1
.Ltmp28:
	.loc	2 293 36                        ; standard.py:293:36 @[ skip_layernorm_aot.py:41:17 ]
	s_nop 0
	v_readlane_b32 s17, v4, 63
	s_and_saveexec_b64 s[26:27], s[6:7]
; %bb.23:
	v_mov_b32_e32 v4, s28
	v_mov_b32_e32 v5, s17
	ds_write_b32 v4, v5
.Ltmp29:
; %bb.24:
	.loc	2 0 36 is_stmt 0                ; standard.py:0:36
	s_or_b64 exec, exec, s[26:27]
	.loc	1 41 17 is_stmt 1               ; skip_layernorm_aot.py:41:17
	v_mov_b32_e32 v4, 0
.Ltmp30:
	.loc	2 293 36                        ; standard.py:293:36 @[ skip_layernorm_aot.py:41:17 ]
	s_waitcnt lgkmcnt(0)
	s_barrier
	s_and_saveexec_b64 s[6:7], s[10:11]
; %bb.25:
	ds_read_b32 v4, v11
; %bb.26:
	.loc	2 0 36 is_stmt 0                ; standard.py:0:36
	s_or_b64 exec, exec, s[6:7]
	.loc	2 293 36                        ; standard.py:293:36 @[ skip_layernorm_aot.py:41:17 ]
	s_waitcnt lgkmcnt(0)
	v_mov_b32_e32 v5, v4
	s_load_dword s6, s[0:1], 0x44
	s_nop 0
	v_mov_b32_dpp v5, v5 row_shr:4 row_mask:0xf bank_mask:0xa
	s_nop 1
	v_mov_b32_dpp v5, v4 row_shl:4 row_mask:0xf bank_mask:0x5
.Ltmp31:
	.loc	2 263 15 is_stmt 1              ; standard.py:263:15 @[ standard.py:293:36 @[ skip_layernorm_aot.py:41:17 ] ]
	v_add_f32_e32 v4, v4, v5
.Ltmp32:
	.loc	2 293 36                        ; standard.py:293:36 @[ skip_layernorm_aot.py:41:17 ]
	v_mov_b32_e32 v5, v4
	s_nop 1
	v_mov_b32_dpp v5, v5 quad_perm:[2,3,0,1] row_mask:0xf bank_mask:0xf
.Ltmp33:
	.loc	2 263 15                        ; standard.py:263:15 @[ standard.py:293:36 @[ skip_layernorm_aot.py:41:17 ] ]
	v_add_f32_e32 v4, v4, v5
.Ltmp34:
	.loc	2 293 36                        ; standard.py:293:36 @[ skip_layernorm_aot.py:41:17 ]
	v_mov_b32_e32 v5, v4
	s_nop 1
	v_mov_b32_dpp v5, v5 quad_perm:[1,0,3,2] row_mask:0xf bank_mask:0xf
	s_and_saveexec_b64 s[0:1], s[14:15]
; %bb.27:
	.loc	2 0 36 is_stmt 0                ; standard.py:0:36
	v_add_f32_e32 v4, v4, v5
	.loc	2 293 36                        ; standard.py:293:36 @[ skip_layernorm_aot.py:41:17 ]
	ds_write_b32 v11, v4
.Ltmp35:
; %bb.28:
	.loc	2 0 36                          ; standard.py:0:36
	s_or_b64 exec, exec, s[0:1]
	.loc	1 25 15 is_stmt 1               ; skip_layernorm_aot.py:25:15
	s_mul_i32 s0, s12, s16
	.loc	1 25 9 is_stmt 0                ; skip_layernorm_aot.py:25:9
	s_ashr_i32 s1, s0, 31
	s_lshl_b64 s[0:1], s[0:1], 1
	s_add_u32 s0, s2, s0
	s_mov_b32 s11, 0x27000
	s_mov_b32 s10, 0x7ffffffe
	.loc	1 44 16 is_stmt 1               ; skip_layernorm_aot.py:44:16
	v_lshlrev_b32_e32 v4, 1, v8
	v_bfrev_b32_e32 v5, 1
	.loc	1 25 9                          ; skip_layernorm_aot.py:25:9
	s_addc_u32 s1, s3, s1
	.loc	1 44 16                         ; skip_layernorm_aot.py:44:16
	s_and_b32 s9, s9, 0xffff
	v_cndmask_b32_e64 v4, v5, v4, s[4:5]
	v_lshlrev_b32_e32 v11, 1, v9
	.loc	1 45 16                         ; skip_layernorm_aot.py:45:16
	s_and_b32 s25, s25, 0xffff
	s_mov_b32 s26, s10
	s_mov_b32 s27, s11
.Ltmp36:
	.loc	2 293 36                        ; standard.py:293:36 @[ skip_layernorm_aot.py:41:17 ]
	s_waitcnt lgkmcnt(0)
	s_barrier
.Ltmp37:
	.loc	1 44 16                         ; skip_layernorm_aot.py:44:16
	v_cndmask_b32_e64 v11, v5, v11, s[20:21]
	buffer_load_ushort v15, v4, s[8:11], 0 offen
	buffer_load_ushort v16, v11, s[8:11], 0 offen
	.loc	1 45 16                         ; skip_layernorm_aot.py:45:16
	buffer_load_ushort v18, v4, s[24:27], 0 offen
	buffer_load_ushort v19, v11, s[24:27], 0 offen
	.loc	1 44 16                         ; skip_layernorm_aot.py:44:16
	v_lshlrev_b32_e32 v12, 1, v6
	v_cndmask_b32_e64 v4, v5, v12, s[22:23]
	v_lshlrev_b32_e32 v11, 1, v7
	v_cndmask_b32_e64 v5, v5, v11, s[18:19]
	buffer_load_ushort v12, v4, s[8:11], 0 offen
	buffer_load_ushort v14, v5, s[8:11], 0 offen
	.loc	1 45 16                         ; skip_layernorm_aot.py:45:16
	buffer_load_ushort v11, v4, s[24:27], 0 offen
	buffer_load_ushort v13, v5, s[24:27], 0 offen
.Ltmp38:
	.loc	2 293 36                        ; standard.py:293:36 @[ skip_layernorm_aot.py:41:17 ]
	v_mov_b32_e32 v4, 0
	ds_read_b32 v4, v4
.Ltmp39:
	.loc	1 41 33                         ; skip_layernorm_aot.py:41:33
	s_waitcnt lgkmcnt(0)
	v_div_scale_f32 v5, s[2:3], v10, v10, v4
	v_rcp_f32_e32 v17, v5
	v_div_scale_f32 v20, vcc, v4, v10, v4
	v_fma_f32 v21, -v5, v17, 1.0
	v_fmac_f32_e32 v17, v21, v17
	v_mul_f32_e32 v21, v20, v17
	v_fma_f32 v22, -v5, v21, v20
	v_fmac_f32_e32 v21, v22, v17
	v_fma_f32 v5, -v5, v21, v20
	v_div_fmas_f32 v5, v5, v17, v21
	v_div_fixup_f32 v4, v5, v10, v4
	.loc	1 42 29                         ; skip_layernorm_aot.py:42:29
	v_add_f32_e32 v4, s6, v4
	.loc	1 42 23 is_stmt 0               ; skip_layernorm_aot.py:42:23
	v_sqrt_f32_e32 v4, v4
	.loc	1 45 71 is_stmt 1               ; skip_layernorm_aot.py:45:71
	s_waitcnt vmcnt(5)
	v_cvt_f32_f16_e32 v18, v18
	.loc	1 42 15                         ; skip_layernorm_aot.py:42:15
	v_div_scale_f32 v5, s[2:3], v4, v4, 1.0
	v_rcp_f32_e32 v10, v5
	v_div_scale_f32 v17, vcc, 1.0, v4, 1.0
	.loc	1 45 71                         ; skip_layernorm_aot.py:45:71
	s_waitcnt vmcnt(4)
	v_cvt_f32_f16_e32 v19, v19
	.loc	1 42 15                         ; skip_layernorm_aot.py:42:15
	v_fma_f32 v20, -v5, v10, 1.0
	v_fmac_f32_e32 v10, v20, v10
	v_mul_f32_e32 v20, v17, v10
	v_fma_f32 v21, -v5, v20, v17
	v_fmac_f32_e32 v20, v21, v10
	v_fma_f32 v5, -v5, v20, v17
	.loc	1 44 71                         ; skip_layernorm_aot.py:44:71
	v_cvt_f32_f16_e32 v17, v16
	v_cvt_f32_f16_e32 v16, v15
	.loc	1 42 15                         ; skip_layernorm_aot.py:42:15
	v_div_fmas_f32 v5, v5, v10, v20
	v_div_fixup_f32 v4, v5, v4, 1.0
	.loc	1 47 25                         ; skip_layernorm_aot.py:47:25
	v_pk_mul_f32 v[2:3], v[2:3], v[4:5] op_sel_hi:[1,0]
	.loc	1 48 20                         ; skip_layernorm_aot.py:48:20
	s_nop 0
	v_pk_fma_f32 v[2:3], v[2:3], v[16:17], v[18:19]
	.loc	1 50 36                         ; skip_layernorm_aot.py:50:36
	s_and_saveexec_b64 s[2:3], s[4:5]
	s_cbranch_execz .LBB0_30
; %bb.29:
	.loc	1 0 36 is_stmt 0                ; skip_layernorm_aot.py:0:36
	v_cvt_f16_f32_e32 v2, v2
	v_mul_lo_u32 v16, v8, s13
	v_ashrrev_i32_e32 v17, 31, v16
	v_lshl_add_u64 v[16:17], v[16:17], 1, s[0:1]
	.loc	1 50 36                         ; skip_layernorm_aot.py:50:36
	global_store_short v[16:17], v2, off
.LBB0_30:
	.loc	1 0 36                          ; skip_layernorm_aot.py:0:36
	s_or_b64 exec, exec, s[2:3]
	v_mov_b32_e32 v5, v4
	.loc	1 50 36                         ; skip_layernorm_aot.py:50:36
	s_and_saveexec_b64 s[2:3], s[20:21]
	s_cbranch_execz .LBB0_32
; %bb.31:
	.loc	1 0 36                          ; skip_layernorm_aot.py:0:36
	v_cvt_f16_f32_e32 v8, v3
	.loc	1 50 24                         ; skip_layernorm_aot.py:50:24
	v_mul_lo_u32 v2, v9, s13
	.loc	1 50 17                         ; skip_layernorm_aot.py:50:17
	v_ashrrev_i32_e32 v3, 31, v2
	v_lshl_add_u64 v[2:3], v[2:3], 1, s[0:1]
	.loc	1 50 36                         ; skip_layernorm_aot.py:50:36
	global_store_short v[2:3], v8, off
.LBB0_32:
	.loc	1 0 36                          ; skip_layernorm_aot.py:0:36
	s_or_b64 exec, exec, s[2:3]
	.loc	1 44 71 is_stmt 1               ; skip_layernorm_aot.py:44:71
	s_waitcnt vmcnt(2)
	v_cvt_f32_f16_e32 v3, v14
	v_cvt_f32_f16_e32 v2, v12
	.loc	1 45 71                         ; skip_layernorm_aot.py:45:71
	s_waitcnt vmcnt(0)
	v_cvt_f32_f16_e32 v9, v13
	v_cvt_f32_f16_e32 v8, v11
	.loc	1 47 25                         ; skip_layernorm_aot.py:47:25
	v_pk_mul_f32 v[0:1], v[0:1], v[4:5]
	.loc	1 48 20                         ; skip_layernorm_aot.py:48:20
	s_nop 0
	v_pk_fma_f32 v[0:1], v[0:1], v[2:3], v[8:9]
	.loc	1 50 36                         ; skip_layernorm_aot.py:50:36
	s_and_saveexec_b64 s[2:3], s[22:23]
	s_cbranch_execnz .LBB0_35
; %bb.33:
	.loc	1 0 36 is_stmt 0                ; skip_layernorm_aot.py:0:36
	s_or_b64 exec, exec, s[2:3]
	.loc	1 50 36                         ; skip_layernorm_aot.py:50:36
	s_and_saveexec_b64 s[2:3], s[18:19]
	s_cbranch_execnz .LBB0_36
.LBB0_34:
	.loc	1 50 4                          ; skip_layernorm_aot.py:50:4
	s_endpgm
.LBB0_35:
	.loc	1 0 4                           ; skip_layernorm_aot.py:0:4
	v_cvt_f16_f32_e32 v0, v0
	.loc	1 50 24                         ; skip_layernorm_aot.py:50:24
	v_mul_lo_u32 v2, v6, s13
	.loc	1 50 17                         ; skip_layernorm_aot.py:50:17
	v_ashrrev_i32_e32 v3, 31, v2
	v_lshl_add_u64 v[2:3], v[2:3], 1, s[0:1]
	.loc	1 50 36                         ; skip_layernorm_aot.py:50:36
	global_store_short v[2:3], v0, off
	s_or_b64 exec, exec, s[2:3]
	s_and_saveexec_b64 s[2:3], s[18:19]
	s_cbranch_execz .LBB0_34
.LBB0_36:
	.loc	1 0 36                          ; skip_layernorm_aot.py:0:36
	v_cvt_f16_f32_e32 v2, v1
	.loc	1 50 24                         ; skip_layernorm_aot.py:50:24
	v_mul_lo_u32 v0, v7, s13
	.loc	1 50 17                         ; skip_layernorm_aot.py:50:17
	v_ashrrev_i32_e32 v1, 31, v0
	v_lshl_add_u64 v[0:1], v[0:1], 1, s[0:1]
	.loc	1 50 36                         ; skip_layernorm_aot.py:50:36
	global_store_short v[0:1], v2, off
	.loc	1 50 4                          ; skip_layernorm_aot.py:50:4
	s_endpgm
.Ltmp40:
	.section	.rodata,"a",@progbits
	.p2align	6, 0x0
	.amdhsa_kernel skip_layer_norm_kernel
		.amdhsa_group_segment_fixed_size 0
		.amdhsa_private_segment_fixed_size 0
		.amdhsa_kernarg_size 88
		.amdhsa_user_sgpr_count 16
		.amdhsa_user_sgpr_dispatch_ptr 0
		.amdhsa_user_sgpr_queue_ptr 0
		.amdhsa_user_sgpr_kernarg_segment_ptr 1
		.amdhsa_user_sgpr_dispatch_id 0
		.amdhsa_user_sgpr_kernarg_preload_length 14
		.amdhsa_user_sgpr_kernarg_preload_offset 0
		.amdhsa_user_sgpr_private_segment_size 0
		.amdhsa_uses_dynamic_stack 0
		.amdhsa_enable_private_segment 0
		.amdhsa_system_sgpr_workgroup_id_x 1
		.amdhsa_system_sgpr_workgroup_id_y 0
		.amdhsa_system_sgpr_workgroup_id_z 0
		.amdhsa_system_sgpr_workgroup_info 0
		.amdhsa_system_vgpr_workitem_id 0
		.amdhsa_next_free_vgpr 23
		.amdhsa_next_free_sgpr 30
		.amdhsa_accum_offset 24
		.amdhsa_reserve_vcc 1
		.amdhsa_reserve_xnack_mask 1
		.amdhsa_float_round_mode_32 0
		.amdhsa_float_round_mode_16_64 0
		.amdhsa_float_denorm_mode_32 3
		.amdhsa_float_denorm_mode_16_64 3
		.amdhsa_dx10_clamp 1
		.amdhsa_ieee_mode 1
		.amdhsa_fp16_overflow 0
		.amdhsa_tg_split 0
		.amdhsa_exception_fp_ieee_invalid_op 0
		.amdhsa_exception_fp_denorm_src 0
		.amdhsa_exception_fp_ieee_div_zero 0
		.amdhsa_exception_fp_ieee_overflow 0
		.amdhsa_exception_fp_ieee_underflow 0
		.amdhsa_exception_fp_ieee_inexact 0
		.amdhsa_exception_int_div_zero 0
	.end_amdhsa_kernel
	.text
.Lfunc_end0:
	.size	skip_layer_norm_kernel, .Lfunc_end0-skip_layer_norm_kernel
	.cfi_endproc
                                        ; -- End function
	.set skip_layer_norm_kernel.num_vgpr, 23
	.set skip_layer_norm_kernel.num_agpr, 0
	.set skip_layer_norm_kernel.numbered_sgpr, 30
	.set skip_layer_norm_kernel.num_named_barrier, 0
	.set skip_layer_norm_kernel.private_seg_size, 0
	.set skip_layer_norm_kernel.uses_vcc, 1
	.set skip_layer_norm_kernel.uses_flat_scratch, 0
	.set skip_layer_norm_kernel.has_dyn_sized_stack, 0
	.set skip_layer_norm_kernel.has_recursion, 0
	.set skip_layer_norm_kernel.has_indirect_call, 0
	.section	.AMDGPU.csdata,"",@progbits
; Kernel info:
; codeLenInByte = 2148
; TotalNumSgprs: 36
; NumVgprs: 23
; NumAgprs: 0
; TotalNumVgprs: 23
; ScratchSize: 0
; MemoryBound: 0
; FloatMode: 240
; IeeeMode: 1
; LDSByteSize: 0 bytes/workgroup (compile time only)
; SGPRBlocks: 4
; VGPRBlocks: 2
; NumSGPRsForWavesPerEU: 36
; NumVGPRsForWavesPerEU: 23
; AccumOffset: 24
; Occupancy: 8
; WaveLimiterHint : 0
; COMPUTE_PGM_RSRC2:SCRATCH_EN: 0
; COMPUTE_PGM_RSRC2:USER_SGPR: 16
; COMPUTE_PGM_RSRC2:TRAP_HANDLER: 0
; COMPUTE_PGM_RSRC2:TGID_X_EN: 1
; COMPUTE_PGM_RSRC2:TGID_Y_EN: 0
; COMPUTE_PGM_RSRC2:TGID_Z_EN: 0
; COMPUTE_PGM_RSRC2:TIDIG_COMP_CNT: 0
; COMPUTE_PGM_RSRC3_GFX90A:ACCUM_OFFSET: 5
; COMPUTE_PGM_RSRC3_GFX90A:TG_SPLIT: 0
	.text
	.p2alignl 6, 3212836864
	.fill 256, 4, 3212836864
	.section	.AMDGPU.gpr_maximums,"",@progbits
	.set amdgpu.max_num_vgpr, 0
	.set amdgpu.max_num_agpr, 0
	.set amdgpu.max_num_sgpr, 0
	.set amdgpu.max_num_named_barrier, 0
	.text
	.section	.debug_abbrev,"",@progbits
	.byte	1                               ; Abbreviation Code
	.byte	17                              ; DW_TAG_compile_unit
	.byte	1                               ; DW_CHILDREN_yes
	.byte	37                              ; DW_AT_producer
	.byte	14                              ; DW_FORM_strp
	.byte	19                              ; DW_AT_language
	.byte	5                               ; DW_FORM_data2
	.byte	3                               ; DW_AT_name
	.byte	14                              ; DW_FORM_strp
	.byte	16                              ; DW_AT_stmt_list
	.byte	23                              ; DW_FORM_sec_offset
	.byte	27                              ; DW_AT_comp_dir
	.byte	14                              ; DW_FORM_strp
	.byte	17                              ; DW_AT_low_pc
	.byte	1                               ; DW_FORM_addr
	.byte	18                              ; DW_AT_high_pc
	.byte	6                               ; DW_FORM_data4
	.byte	0                               ; EOM(1)
	.byte	0                               ; EOM(2)
	.byte	2                               ; Abbreviation Code
	.byte	46                              ; DW_TAG_subprogram
	.byte	0                               ; DW_CHILDREN_no
	.byte	3                               ; DW_AT_name
	.byte	14                              ; DW_FORM_strp
	.byte	32                              ; DW_AT_inline
	.byte	11                              ; DW_FORM_data1
	.byte	0                               ; EOM(1)
	.byte	0                               ; EOM(2)
	.byte	3                               ; Abbreviation Code
	.byte	46                              ; DW_TAG_subprogram
	.byte	1                               ; DW_CHILDREN_yes
	.byte	17                              ; DW_AT_low_pc
	.byte	1                               ; DW_FORM_addr
	.byte	18                              ; DW_AT_high_pc
	.byte	6                               ; DW_FORM_data4
	.byte	49                              ; DW_AT_abstract_origin
	.byte	19                              ; DW_FORM_ref4
	.byte	0                               ; EOM(1)
	.byte	0                               ; EOM(2)
	.byte	4                               ; Abbreviation Code
	.byte	29                              ; DW_TAG_inlined_subroutine
	.byte	1                               ; DW_CHILDREN_yes
	.byte	49                              ; DW_AT_abstract_origin
	.byte	19                              ; DW_FORM_ref4
	.byte	85                              ; DW_AT_ranges
	.byte	23                              ; DW_FORM_sec_offset
	.byte	88                              ; DW_AT_call_file
	.byte	11                              ; DW_FORM_data1
	.byte	89                              ; DW_AT_call_line
	.byte	11                              ; DW_FORM_data1
	.byte	87                              ; DW_AT_call_column
	.byte	11                              ; DW_FORM_data1
	.byte	0                               ; EOM(1)
	.byte	0                               ; EOM(2)
	.byte	5                               ; Abbreviation Code
	.byte	29                              ; DW_TAG_inlined_subroutine
	.byte	0                               ; DW_CHILDREN_no
	.byte	49                              ; DW_AT_abstract_origin
	.byte	19                              ; DW_FORM_ref4
	.byte	85                              ; DW_AT_ranges
	.byte	23                              ; DW_FORM_sec_offset
	.byte	88                              ; DW_AT_call_file
	.byte	11                              ; DW_FORM_data1
	.byte	89                              ; DW_AT_call_line
	.byte	5                               ; DW_FORM_data2
	.byte	87                              ; DW_AT_call_column
	.byte	11                              ; DW_FORM_data1
	.byte	0                               ; EOM(1)
	.byte	0                               ; EOM(2)
	;; [unrolled: 1-line block ×3, first 2 shown]
	.section	.debug_info,"",@progbits
.Lcu_begin0:
	.long	.Ldebug_info_end0-.Ldebug_info_start0 ; Length of Unit
.Ldebug_info_start0:
	.short	4                               ; DWARF version number
	.long	.debug_abbrev                   ; Offset Into Abbrev. Section
	.byte	8                               ; Address Size (in bytes)
	.byte	1                               ; Abbrev [1] 0xb:0x6c DW_TAG_compile_unit
	.long	.Linfo_string0                  ; DW_AT_producer
	.short	2                               ; DW_AT_language
	.long	.Linfo_string1                  ; DW_AT_name
	.long	.Lline_table_start0             ; DW_AT_stmt_list
	.long	.Linfo_string2                  ; DW_AT_comp_dir
	.quad	.Lfunc_begin0                   ; DW_AT_low_pc
	.long	.Lfunc_end0-.Lfunc_begin0       ; DW_AT_high_pc
	.byte	2                               ; Abbrev [2] 0x2a:0x6 DW_TAG_subprogram
	.long	.Linfo_string3                  ; DW_AT_name
	.byte	1                               ; DW_AT_inline
	.byte	3                               ; Abbrev [3] 0x30:0x46 DW_TAG_subprogram
	.quad	.Lfunc_begin0                   ; DW_AT_low_pc
	.long	.Lfunc_end0-.Lfunc_begin0       ; DW_AT_high_pc
	.long	42                              ; DW_AT_abstract_origin
	.byte	4                               ; Abbrev [4] 0x41:0x1a DW_TAG_inlined_subroutine
	.long	42                              ; DW_AT_abstract_origin
	.long	.Ldebug_ranges0                 ; DW_AT_ranges
	.byte	1                               ; DW_AT_call_file
	.byte	41                              ; DW_AT_call_line
	.byte	17                              ; DW_AT_call_column
	.byte	5                               ; Abbrev [5] 0x4d:0xd DW_TAG_inlined_subroutine
	.long	42                              ; DW_AT_abstract_origin
	.long	.Ldebug_ranges1                 ; DW_AT_ranges
	.byte	2                               ; DW_AT_call_file
	.short	293                             ; DW_AT_call_line
	.byte	36                              ; DW_AT_call_column
	.byte	0                               ; End Of Children Mark
	.byte	4                               ; Abbrev [4] 0x5b:0x1a DW_TAG_inlined_subroutine
	.long	42                              ; DW_AT_abstract_origin
	.long	.Ldebug_ranges2                 ; DW_AT_ranges
	.byte	1                               ; DW_AT_call_file
	.byte	36                              ; DW_AT_call_line
	.byte	18                              ; DW_AT_call_column
	.byte	5                               ; Abbrev [5] 0x67:0xd DW_TAG_inlined_subroutine
	.long	42                              ; DW_AT_abstract_origin
	.long	.Ldebug_ranges3                 ; DW_AT_ranges
	.byte	2                               ; DW_AT_call_file
	.short	293                             ; DW_AT_call_line
	.byte	36                              ; DW_AT_call_column
	.byte	0                               ; End Of Children Mark
	.byte	0                               ; End Of Children Mark
	;; [unrolled: 1-line block ×3, first 2 shown]
.Ldebug_info_end0:
	.section	.debug_ranges,"",@progbits
.Ldebug_ranges0:
	.quad	.Ltmp2-.Lfunc_begin0
	.quad	.Ltmp3-.Lfunc_begin0
	;; [unrolled: 1-line block ×14, first 2 shown]
	.quad	0
	.quad	0
.Ldebug_ranges1:
	.quad	.Ltmp23-.Lfunc_begin0
	.quad	.Ltmp24-.Lfunc_begin0
	.quad	.Ltmp25-.Lfunc_begin0
	.quad	.Ltmp26-.Lfunc_begin0
	.quad	.Ltmp27-.Lfunc_begin0
	.quad	.Ltmp28-.Lfunc_begin0
	.quad	.Ltmp31-.Lfunc_begin0
	.quad	.Ltmp32-.Lfunc_begin0
	.quad	.Ltmp33-.Lfunc_begin0
	.quad	.Ltmp34-.Lfunc_begin0
	.quad	0
	.quad	0
.Ldebug_ranges2:
	.quad	.Ltmp4-.Lfunc_begin0
	.quad	.Ltmp6-.Lfunc_begin0
	;; [unrolled: 1-line block ×6, first 2 shown]
	.quad	0
	.quad	0
.Ldebug_ranges3:
	.quad	.Ltmp5-.Lfunc_begin0
	.quad	.Ltmp6-.Lfunc_begin0
	;; [unrolled: 1-line block ×12, first 2 shown]
	.quad	0
	.quad	0
	.section	.debug_str,"MS",@progbits,1
.Linfo_string0:
	.asciz	"triton"                        ; string offset=0
.Linfo_string1:
	.asciz	"skip_layernorm_aot.py"         ; string offset=7
.Linfo_string2:
	.asciz	"/root/src/amdgpu-assembly/repos/FlagOpen__FlagGems/triton_aot_kernels" ; string offset=29
.Linfo_string3:
	.asciz	"skip_layer_norm_kernel"        ; string offset=99
	.section	".note.GNU-stack","",@progbits
	.amdgpu_metadata
---
amdhsa.kernels:
  - .agpr_count:     0
    .args:
      - .address_space:  global
        .offset:         0
        .size:           8
        .value_kind:     global_buffer
      - .address_space:  global
        .offset:         8
        .size:           8
        .value_kind:     global_buffer
      - .address_space:  global
        .offset:         16
        .size:           8
        .value_kind:     global_buffer
      - .address_space:  global
        .offset:         24
        .size:           8
        .value_kind:     global_buffer
      - .address_space:  global
        .offset:         32
        .size:           8
        .value_kind:     global_buffer
      - .offset:         40
        .size:           4
        .value_kind:     by_value
      - .offset:         44
        .size:           4
        .value_kind:     by_value
      - .offset:         48
        .size:           4
        .value_kind:     by_value
      - .offset:         52
        .size:           4
        .value_kind:     by_value
      - .offset:         56
        .size:           4
        .value_kind:     by_value
      - .offset:         60
        .size:           4
        .value_kind:     by_value
      - .offset:         64
        .size:           4
        .value_kind:     by_value
      - .offset:         68
        .size:           4
        .value_kind:     by_value
      - .address_space:  global
        .offset:         72
        .size:           8
        .value_kind:     global_buffer
      - .address_space:  global
        .offset:         80
        .size:           8
        .value_kind:     global_buffer
    .group_segment_fixed_size: 0
    .kernarg_segment_align: 8
    .kernarg_segment_size: 88
    .max_flat_workgroup_size: 512
    .name:           skip_layer_norm_kernel
    .private_segment_fixed_size: 0
    .sgpr_count:     36
    .sgpr_spill_count: 0
    .symbol:         skip_layer_norm_kernel.kd
    .uniform_work_group_size: 1
    .uses_dynamic_stack: false
    .vgpr_count:     23
    .vgpr_spill_count: 0
    .wavefront_size: 64
amdhsa.target:   amdgcn-amd-amdhsa--gfx950
amdhsa.version:
  - 1
  - 2
...

	.end_amdgpu_metadata
	.section	.debug_line,"",@progbits
.Lline_table_start0:
